;; amdgpu-corpus repo=ROCm/rocFFT kind=compiled arch=gfx1030 opt=O3
	.text
	.amdgcn_target "amdgcn-amd-amdhsa--gfx1030"
	.amdhsa_code_object_version 6
	.protected	fft_rtc_fwd_len676_factors_13_13_4_wgs_52_tpt_52_sp_ip_CI_unitstride_sbrr_R2C_dirReg ; -- Begin function fft_rtc_fwd_len676_factors_13_13_4_wgs_52_tpt_52_sp_ip_CI_unitstride_sbrr_R2C_dirReg
	.globl	fft_rtc_fwd_len676_factors_13_13_4_wgs_52_tpt_52_sp_ip_CI_unitstride_sbrr_R2C_dirReg
	.p2align	8
	.type	fft_rtc_fwd_len676_factors_13_13_4_wgs_52_tpt_52_sp_ip_CI_unitstride_sbrr_R2C_dirReg,@function
fft_rtc_fwd_len676_factors_13_13_4_wgs_52_tpt_52_sp_ip_CI_unitstride_sbrr_R2C_dirReg: ; @fft_rtc_fwd_len676_factors_13_13_4_wgs_52_tpt_52_sp_ip_CI_unitstride_sbrr_R2C_dirReg
; %bb.0:
	s_clause 0x2
	s_load_dwordx4 s[8:11], s[4:5], 0x0
	s_load_dwordx2 s[2:3], s[4:5], 0x50
	s_load_dwordx2 s[12:13], s[4:5], 0x18
	v_mul_u32_u24_e32 v1, 0x4ed, v0
	v_mov_b32_e32 v3, 0
	v_add_nc_u32_sdwa v5, s6, v1 dst_sel:DWORD dst_unused:UNUSED_PAD src0_sel:DWORD src1_sel:WORD_1
	v_mov_b32_e32 v1, 0
	v_mov_b32_e32 v6, v3
	v_mov_b32_e32 v2, 0
	s_waitcnt lgkmcnt(0)
	v_cmp_lt_u64_e64 s0, s[10:11], 2
	s_and_b32 vcc_lo, exec_lo, s0
	s_cbranch_vccnz .LBB0_8
; %bb.1:
	s_load_dwordx2 s[0:1], s[4:5], 0x10
	v_mov_b32_e32 v1, 0
	s_add_u32 s6, s12, 8
	v_mov_b32_e32 v2, 0
	s_addc_u32 s7, s13, 0
	s_mov_b64 s[16:17], 1
	s_waitcnt lgkmcnt(0)
	s_add_u32 s14, s0, 8
	s_addc_u32 s15, s1, 0
.LBB0_2:                                ; =>This Inner Loop Header: Depth=1
	s_load_dwordx2 s[18:19], s[14:15], 0x0
                                        ; implicit-def: $vgpr7_vgpr8
	s_mov_b32 s0, exec_lo
	s_waitcnt lgkmcnt(0)
	v_or_b32_e32 v4, s19, v6
	v_cmpx_ne_u64_e32 0, v[3:4]
	s_xor_b32 s1, exec_lo, s0
	s_cbranch_execz .LBB0_4
; %bb.3:                                ;   in Loop: Header=BB0_2 Depth=1
	v_cvt_f32_u32_e32 v4, s18
	v_cvt_f32_u32_e32 v7, s19
	s_sub_u32 s0, 0, s18
	s_subb_u32 s20, 0, s19
	v_fmac_f32_e32 v4, 0x4f800000, v7
	v_rcp_f32_e32 v4, v4
	v_mul_f32_e32 v4, 0x5f7ffffc, v4
	v_mul_f32_e32 v7, 0x2f800000, v4
	v_trunc_f32_e32 v7, v7
	v_fmac_f32_e32 v4, 0xcf800000, v7
	v_cvt_u32_f32_e32 v7, v7
	v_cvt_u32_f32_e32 v4, v4
	v_mul_lo_u32 v8, s0, v7
	v_mul_hi_u32 v9, s0, v4
	v_mul_lo_u32 v10, s20, v4
	v_add_nc_u32_e32 v8, v9, v8
	v_mul_lo_u32 v9, s0, v4
	v_add_nc_u32_e32 v8, v8, v10
	v_mul_hi_u32 v10, v4, v9
	v_mul_lo_u32 v11, v4, v8
	v_mul_hi_u32 v12, v4, v8
	v_mul_hi_u32 v13, v7, v9
	v_mul_lo_u32 v9, v7, v9
	v_mul_hi_u32 v14, v7, v8
	v_mul_lo_u32 v8, v7, v8
	v_add_co_u32 v10, vcc_lo, v10, v11
	v_add_co_ci_u32_e32 v11, vcc_lo, 0, v12, vcc_lo
	v_add_co_u32 v9, vcc_lo, v10, v9
	v_add_co_ci_u32_e32 v9, vcc_lo, v11, v13, vcc_lo
	v_add_co_ci_u32_e32 v10, vcc_lo, 0, v14, vcc_lo
	v_add_co_u32 v8, vcc_lo, v9, v8
	v_add_co_ci_u32_e32 v9, vcc_lo, 0, v10, vcc_lo
	v_add_co_u32 v4, vcc_lo, v4, v8
	v_add_co_ci_u32_e32 v7, vcc_lo, v7, v9, vcc_lo
	v_mul_hi_u32 v8, s0, v4
	v_mul_lo_u32 v10, s20, v4
	v_mul_lo_u32 v9, s0, v7
	v_add_nc_u32_e32 v8, v8, v9
	v_mul_lo_u32 v9, s0, v4
	v_add_nc_u32_e32 v8, v8, v10
	v_mul_hi_u32 v10, v4, v9
	v_mul_lo_u32 v11, v4, v8
	v_mul_hi_u32 v12, v4, v8
	v_mul_hi_u32 v13, v7, v9
	v_mul_lo_u32 v9, v7, v9
	v_mul_hi_u32 v14, v7, v8
	v_mul_lo_u32 v8, v7, v8
	v_add_co_u32 v10, vcc_lo, v10, v11
	v_add_co_ci_u32_e32 v11, vcc_lo, 0, v12, vcc_lo
	v_add_co_u32 v9, vcc_lo, v10, v9
	v_add_co_ci_u32_e32 v9, vcc_lo, v11, v13, vcc_lo
	v_add_co_ci_u32_e32 v10, vcc_lo, 0, v14, vcc_lo
	v_add_co_u32 v8, vcc_lo, v9, v8
	v_add_co_ci_u32_e32 v9, vcc_lo, 0, v10, vcc_lo
	v_add_co_u32 v4, vcc_lo, v4, v8
	v_add_co_ci_u32_e32 v11, vcc_lo, v7, v9, vcc_lo
	v_mul_hi_u32 v13, v5, v4
	v_mad_u64_u32 v[9:10], null, v6, v4, 0
	v_mad_u64_u32 v[7:8], null, v5, v11, 0
	;; [unrolled: 1-line block ×3, first 2 shown]
	v_add_co_u32 v4, vcc_lo, v13, v7
	v_add_co_ci_u32_e32 v7, vcc_lo, 0, v8, vcc_lo
	v_add_co_u32 v4, vcc_lo, v4, v9
	v_add_co_ci_u32_e32 v4, vcc_lo, v7, v10, vcc_lo
	v_add_co_ci_u32_e32 v7, vcc_lo, 0, v12, vcc_lo
	v_add_co_u32 v4, vcc_lo, v4, v11
	v_add_co_ci_u32_e32 v9, vcc_lo, 0, v7, vcc_lo
	v_mul_lo_u32 v10, s19, v4
	v_mad_u64_u32 v[7:8], null, s18, v4, 0
	v_mul_lo_u32 v11, s18, v9
	v_sub_co_u32 v7, vcc_lo, v5, v7
	v_add3_u32 v8, v8, v11, v10
	v_sub_nc_u32_e32 v10, v6, v8
	v_subrev_co_ci_u32_e64 v10, s0, s19, v10, vcc_lo
	v_add_co_u32 v11, s0, v4, 2
	v_add_co_ci_u32_e64 v12, s0, 0, v9, s0
	v_sub_co_u32 v13, s0, v7, s18
	v_sub_co_ci_u32_e32 v8, vcc_lo, v6, v8, vcc_lo
	v_subrev_co_ci_u32_e64 v10, s0, 0, v10, s0
	v_cmp_le_u32_e32 vcc_lo, s18, v13
	v_cmp_eq_u32_e64 s0, s19, v8
	v_cndmask_b32_e64 v13, 0, -1, vcc_lo
	v_cmp_le_u32_e32 vcc_lo, s19, v10
	v_cndmask_b32_e64 v14, 0, -1, vcc_lo
	v_cmp_le_u32_e32 vcc_lo, s18, v7
	;; [unrolled: 2-line block ×3, first 2 shown]
	v_cndmask_b32_e64 v15, 0, -1, vcc_lo
	v_cmp_eq_u32_e32 vcc_lo, s19, v10
	v_cndmask_b32_e64 v7, v15, v7, s0
	v_cndmask_b32_e32 v10, v14, v13, vcc_lo
	v_add_co_u32 v13, vcc_lo, v4, 1
	v_add_co_ci_u32_e32 v14, vcc_lo, 0, v9, vcc_lo
	v_cmp_ne_u32_e32 vcc_lo, 0, v10
	v_cndmask_b32_e32 v8, v14, v12, vcc_lo
	v_cndmask_b32_e32 v10, v13, v11, vcc_lo
	v_cmp_ne_u32_e32 vcc_lo, 0, v7
	v_cndmask_b32_e32 v8, v9, v8, vcc_lo
	v_cndmask_b32_e32 v7, v4, v10, vcc_lo
.LBB0_4:                                ;   in Loop: Header=BB0_2 Depth=1
	s_andn2_saveexec_b32 s0, s1
	s_cbranch_execz .LBB0_6
; %bb.5:                                ;   in Loop: Header=BB0_2 Depth=1
	v_cvt_f32_u32_e32 v4, s18
	s_sub_i32 s1, 0, s18
	v_rcp_iflag_f32_e32 v4, v4
	v_mul_f32_e32 v4, 0x4f7ffffe, v4
	v_cvt_u32_f32_e32 v4, v4
	v_mul_lo_u32 v7, s1, v4
	v_mul_hi_u32 v7, v4, v7
	v_add_nc_u32_e32 v4, v4, v7
	v_mul_hi_u32 v4, v5, v4
	v_mul_lo_u32 v7, v4, s18
	v_add_nc_u32_e32 v8, 1, v4
	v_sub_nc_u32_e32 v7, v5, v7
	v_subrev_nc_u32_e32 v9, s18, v7
	v_cmp_le_u32_e32 vcc_lo, s18, v7
	v_cndmask_b32_e32 v7, v7, v9, vcc_lo
	v_cndmask_b32_e32 v4, v4, v8, vcc_lo
	v_cmp_le_u32_e32 vcc_lo, s18, v7
	v_add_nc_u32_e32 v8, 1, v4
	v_cndmask_b32_e32 v7, v4, v8, vcc_lo
	v_mov_b32_e32 v8, v3
.LBB0_6:                                ;   in Loop: Header=BB0_2 Depth=1
	s_or_b32 exec_lo, exec_lo, s0
	s_load_dwordx2 s[0:1], s[6:7], 0x0
	v_mul_lo_u32 v4, v8, s18
	v_mul_lo_u32 v11, v7, s19
	v_mad_u64_u32 v[9:10], null, v7, s18, 0
	s_add_u32 s16, s16, 1
	s_addc_u32 s17, s17, 0
	s_add_u32 s6, s6, 8
	s_addc_u32 s7, s7, 0
	;; [unrolled: 2-line block ×3, first 2 shown]
	v_add3_u32 v4, v10, v11, v4
	v_sub_co_u32 v5, vcc_lo, v5, v9
	v_sub_co_ci_u32_e32 v4, vcc_lo, v6, v4, vcc_lo
	s_waitcnt lgkmcnt(0)
	v_mul_lo_u32 v6, s1, v5
	v_mul_lo_u32 v4, s0, v4
	v_mad_u64_u32 v[1:2], null, s0, v5, v[1:2]
	v_cmp_ge_u64_e64 s0, s[16:17], s[10:11]
	s_and_b32 vcc_lo, exec_lo, s0
	v_add3_u32 v2, v6, v2, v4
	s_cbranch_vccnz .LBB0_9
; %bb.7:                                ;   in Loop: Header=BB0_2 Depth=1
	v_mov_b32_e32 v5, v7
	v_mov_b32_e32 v6, v8
	s_branch .LBB0_2
.LBB0_8:
	v_mov_b32_e32 v8, v6
	v_mov_b32_e32 v7, v5
.LBB0_9:
	s_lshl_b64 s[0:1], s[10:11], 3
	v_mul_hi_u32 v3, 0x4ec4ec5, v0
	s_add_u32 s0, s12, s0
	s_addc_u32 s1, s13, s1
	s_load_dwordx2 s[4:5], s[4:5], 0x20
	s_load_dwordx2 s[0:1], s[0:1], 0x0
	v_mul_u32_u24_e32 v3, 52, v3
	v_sub_nc_u32_e32 v24, v0, v3
	v_add_nc_u32_e32 v29, 52, v24
	v_add_nc_u32_e32 v31, 0x68, v24
	;; [unrolled: 1-line block ×3, first 2 shown]
	s_waitcnt lgkmcnt(0)
	v_cmp_gt_u64_e32 vcc_lo, s[4:5], v[7:8]
	v_mul_lo_u32 v3, s0, v8
	v_mul_lo_u32 v4, s1, v7
	v_mad_u64_u32 v[0:1], null, s0, v7, v[1:2]
	v_cmp_le_u64_e64 s0, s[4:5], v[7:8]
	v_add3_u32 v1, v4, v1, v3
	s_and_saveexec_b32 s1, s0
	s_xor_b32 s0, exec_lo, s1
; %bb.10:
	v_add_nc_u32_e32 v29, 52, v24
	v_add_nc_u32_e32 v31, 0x68, v24
	;; [unrolled: 1-line block ×3, first 2 shown]
; %bb.11:
	s_or_saveexec_b32 s1, s0
	v_lshlrev_b64 v[26:27], 3, v[0:1]
	v_lshl_add_u32 v42, v24, 3, 0
	s_xor_b32 exec_lo, exec_lo, s1
	s_cbranch_execz .LBB0_13
; %bb.12:
	v_mov_b32_e32 v25, 0
	v_add_co_u32 v2, s0, s2, v26
	v_add_co_ci_u32_e64 v3, s0, s3, v27, s0
	v_lshlrev_b64 v[0:1], 3, v[24:25]
	v_add_nc_u32_e32 v25, 0x400, v42
	v_add_nc_u32_e32 v30, 0x800, v42
	;; [unrolled: 1-line block ×3, first 2 shown]
	v_add_co_u32 v0, s0, v2, v0
	v_add_co_ci_u32_e64 v1, s0, v3, v1, s0
	s_clause 0x3
	global_load_dwordx2 v[2:3], v[0:1], off
	global_load_dwordx2 v[4:5], v[0:1], off offset:416
	global_load_dwordx2 v[6:7], v[0:1], off offset:832
	;; [unrolled: 1-line block ×3, first 2 shown]
	v_add_co_u32 v10, s0, 0x800, v0
	v_add_co_ci_u32_e64 v11, s0, 0, v1, s0
	v_add_co_u32 v12, s0, 0x1000, v0
	v_add_co_ci_u32_e64 v13, s0, 0, v1, s0
	s_clause 0x8
	global_load_dwordx2 v[0:1], v[0:1], off offset:1664
	global_load_dwordx2 v[14:15], v[10:11], off offset:32
	;; [unrolled: 1-line block ×9, first 2 shown]
	s_waitcnt vmcnt(11)
	ds_write2_b64 v42, v[2:3], v[4:5] offset1:52
	s_waitcnt vmcnt(9)
	ds_write2_b64 v42, v[6:7], v[8:9] offset0:104 offset1:156
	s_waitcnt vmcnt(7)
	ds_write2_b64 v25, v[0:1], v[14:15] offset0:80 offset1:132
	;; [unrolled: 2-line block ×5, first 2 shown]
	s_waitcnt vmcnt(0)
	ds_write_b64 v42, v[12:13] offset:4992
.LBB0_13:
	s_or_b32 exec_lo, exec_lo, s1
	s_waitcnt lgkmcnt(0)
	s_barrier
	buffer_gl0_inv
	ds_read2_b64 v[18:21], v42 offset1:52
	ds_read_b64 v[12:13], v42 offset:4992
	ds_read2_b64 v[32:35], v42 offset0:104 offset1:156
	v_add_nc_u32_e32 v14, 0x400, v42
	v_add_nc_u32_e32 v25, 0x800, v42
	;; [unrolled: 1-line block ×3, first 2 shown]
	ds_read2_b64 v[4:7], v14 offset0:80 offset1:132
	ds_read2_b64 v[0:3], v25 offset0:56 offset1:108
	;; [unrolled: 1-line block ×4, first 2 shown]
	s_waitcnt lgkmcnt(0)
	s_barrier
	buffer_gl0_inv
	v_cmp_gt_u32_e64 s0, 13, v24
	v_add_f32_e32 v17, v19, v21
	v_add_f32_e32 v16, v18, v20
	v_sub_f32_e32 v23, v21, v13
	v_add_f32_e32 v22, v12, v20
	v_sub_f32_e32 v20, v20, v12
	v_add_f32_e32 v17, v17, v33
	v_add_f32_e32 v16, v16, v32
	v_mul_f32_e32 v30, 0xbeedf032, v23
	v_mul_f32_e32 v41, 0xbf52af12, v23
	;; [unrolled: 1-line block ×3, first 2 shown]
	v_add_f32_e32 v17, v17, v35
	v_add_f32_e32 v16, v16, v34
	v_mul_f32_e32 v46, 0xbf6f5d39, v23
	v_mul_f32_e32 v47, 0xbf29c268, v23
	;; [unrolled: 1-line block ×3, first 2 shown]
	v_add_f32_e32 v17, v17, v5
	v_add_f32_e32 v50, v16, v4
	;; [unrolled: 1-line block ×3, first 2 shown]
	v_mul_f32_e32 v40, 0xbeedf032, v20
	v_mul_f32_e32 v43, 0xbf52af12, v20
	v_add_f32_e32 v51, v17, v7
	v_add_f32_e32 v50, v50, v6
	;; [unrolled: 1-line block ×3, first 2 shown]
	v_sub_f32_e32 v35, v35, v37
	v_add_f32_e32 v49, v39, v33
	v_add_f32_e32 v51, v51, v1
	;; [unrolled: 1-line block ×3, first 2 shown]
	v_sub_f32_e32 v33, v33, v39
	v_add_f32_e32 v16, v36, v34
	v_sub_f32_e32 v34, v34, v36
	v_add_f32_e32 v51, v51, v3
	v_add_f32_e32 v50, v50, v2
	v_fma_f32 v52, 0x3f62ad3f, v22, -v30
	v_fmac_f32_e32 v30, 0x3f62ad3f, v22
	v_fma_f32 v54, 0x3f116cb1, v22, -v41
	v_add_f32_e32 v51, v51, v9
	v_add_f32_e32 v50, v50, v8
	v_fmac_f32_e32 v41, 0x3f116cb1, v22
	v_fma_f32 v56, 0x3df6dbef, v22, -v44
	v_fmac_f32_e32 v44, 0x3df6dbef, v22
	v_add_f32_e32 v51, v51, v11
	v_add_f32_e32 v50, v50, v10
	v_fma_f32 v57, 0xbeb58ec6, v22, -v46
	v_fmac_f32_e32 v46, 0xbeb58ec6, v22
	v_mul_f32_e32 v45, 0xbf7e222b, v20
	v_add_f32_e32 v37, v51, v37
	v_add_f32_e32 v36, v50, v36
	v_fma_f32 v50, 0xbf3f9e67, v22, -v47
	v_fmac_f32_e32 v47, 0xbf3f9e67, v22
	v_fma_f32 v51, 0xbf788fa5, v22, -v23
	v_add_f32_e32 v37, v37, v39
	v_fmac_f32_e32 v23, 0xbf788fa5, v22
	v_mul_f32_e32 v22, 0xbf6f5d39, v20
	v_mul_f32_e32 v39, 0xbf29c268, v20
	v_fmamk_f32 v53, v21, 0x3f62ad3f, v40
	v_fmamk_f32 v55, v21, 0x3f116cb1, v43
	v_mul_f32_e32 v20, 0xbe750f2a, v20
	v_fmamk_f32 v58, v21, 0xbeb58ec6, v22
	v_fmamk_f32 v59, v21, 0xbf3f9e67, v39
	v_add_f32_e32 v48, v38, v32
	v_sub_f32_e32 v32, v32, v38
	v_fma_f32 v40, 0x3f62ad3f, v21, -v40
	v_fma_f32 v43, 0x3f116cb1, v21, -v43
	v_add_f32_e32 v36, v36, v38
	v_fmamk_f32 v38, v21, 0x3df6dbef, v45
	v_fma_f32 v45, 0x3df6dbef, v21, -v45
	v_fma_f32 v22, 0xbeb58ec6, v21, -v22
	;; [unrolled: 1-line block ×3, first 2 shown]
	v_fmamk_f32 v60, v21, 0xbf788fa5, v20
	v_fma_f32 v20, 0xbf788fa5, v21, -v20
	v_add_f32_e32 v21, v18, v52
	v_add_f32_e32 v52, v19, v53
	;; [unrolled: 1-line block ×8, first 2 shown]
	v_mul_f32_e32 v59, 0xbf52af12, v33
	v_add_f32_e32 v30, v18, v30
	v_add_f32_e32 v40, v19, v40
	;; [unrolled: 1-line block ×15, first 2 shown]
	v_fma_f32 v23, 0x3f116cb1, v48, -v59
	v_add_f32_e32 v19, v19, v20
	v_mul_f32_e32 v20, 0xbf52af12, v32
	v_add_f32_e32 v12, v36, v12
	v_add_f32_e32 v13, v37, v13
	;; [unrolled: 1-line block ×3, first 2 shown]
	v_mul_f32_e32 v23, 0xbf6f5d39, v33
	v_fmamk_f32 v36, v49, 0x3f116cb1, v20
	v_fma_f32 v20, 0x3f116cb1, v49, -v20
	v_mul_f32_e32 v37, 0xbf6f5d39, v32
	v_fmac_f32_e32 v59, 0x3f116cb1, v48
	v_fma_f32 v61, 0xbeb58ec6, v48, -v23
	v_add_f32_e32 v36, v36, v52
	v_add_f32_e32 v20, v20, v40
	v_fmamk_f32 v40, v49, 0xbeb58ec6, v37
	v_fmac_f32_e32 v23, 0xbeb58ec6, v48
	v_add_f32_e32 v52, v61, v53
	v_mul_f32_e32 v53, 0xbe750f2a, v33
	v_fma_f32 v37, 0xbeb58ec6, v49, -v37
	v_add_f32_e32 v40, v40, v54
	v_mul_f32_e32 v54, 0xbe750f2a, v32
	v_add_f32_e32 v30, v59, v30
	v_fma_f32 v59, 0xbf788fa5, v48, -v53
	v_add_f32_e32 v23, v23, v41
	v_add_f32_e32 v37, v37, v43
	v_mul_f32_e32 v41, 0x3f29c268, v33
	v_fmamk_f32 v43, v49, 0xbf788fa5, v54
	v_fma_f32 v54, 0xbf788fa5, v49, -v54
	v_add_f32_e32 v55, v59, v55
	v_fmac_f32_e32 v53, 0xbf788fa5, v48
	v_fma_f32 v59, 0xbf3f9e67, v48, -v41
	v_fmac_f32_e32 v41, 0xbf3f9e67, v48
	v_add_f32_e32 v45, v54, v45
	v_mul_f32_e32 v54, 0x3f7e222b, v33
	v_add_f32_e32 v44, v53, v44
	v_add_f32_e32 v53, v59, v56
	v_mul_f32_e32 v59, 0x3f7e222b, v32
	v_add_f32_e32 v38, v43, v38
	v_fma_f32 v61, 0x3df6dbef, v48, -v54
	v_mul_f32_e32 v43, 0x3f29c268, v32
	v_add_f32_e32 v41, v41, v46
	v_fmac_f32_e32 v54, 0x3df6dbef, v48
	v_mul_f32_e32 v32, 0x3eedf032, v32
	v_add_f32_e32 v46, v61, v50
	v_fma_f32 v50, 0x3df6dbef, v49, -v59
	v_fmamk_f32 v56, v49, 0xbf3f9e67, v43
	v_fma_f32 v43, 0xbf3f9e67, v49, -v43
	v_mul_f32_e32 v33, 0x3eedf032, v33
	v_add_f32_e32 v47, v54, v47
	v_add_f32_e32 v39, v50, v39
	v_mul_f32_e32 v50, 0xbf7e222b, v35
	v_fmamk_f32 v54, v49, 0x3f62ad3f, v32
	v_fma_f32 v32, 0x3f62ad3f, v49, -v32
	v_add_f32_e32 v56, v56, v57
	v_add_f32_e32 v22, v43, v22
	v_fmamk_f32 v43, v49, 0x3df6dbef, v59
	v_fma_f32 v57, 0x3f62ad3f, v48, -v33
	v_fmac_f32_e32 v33, 0x3f62ad3f, v48
	v_fma_f32 v48, 0x3df6dbef, v16, -v50
	v_add_f32_e32 v49, v54, v60
	v_mul_f32_e32 v54, 0xbf7e222b, v34
	v_add_f32_e32 v19, v32, v19
	v_mul_f32_e32 v32, 0xbe750f2a, v35
	v_add_f32_e32 v51, v57, v51
	v_add_f32_e32 v18, v33, v18
	;; [unrolled: 1-line block ×3, first 2 shown]
	v_fmamk_f32 v33, v17, 0x3df6dbef, v54
	v_fmac_f32_e32 v50, 0x3df6dbef, v16
	v_fma_f32 v48, 0x3df6dbef, v17, -v54
	v_mul_f32_e32 v54, 0xbe750f2a, v34
	v_fma_f32 v57, 0xbf788fa5, v16, -v32
	v_add_f32_e32 v33, v33, v36
	v_add_f32_e32 v30, v50, v30
	;; [unrolled: 1-line block ×3, first 2 shown]
	v_fmamk_f32 v36, v17, 0xbf788fa5, v54
	v_add_f32_e32 v48, v57, v52
	v_mul_f32_e32 v50, 0x3f6f5d39, v35
	v_fmac_f32_e32 v32, 0xbf788fa5, v16
	v_fma_f32 v52, 0xbf788fa5, v17, -v54
	v_add_f32_e32 v36, v36, v40
	v_mul_f32_e32 v40, 0x3f6f5d39, v34
	v_fma_f32 v54, 0xbeb58ec6, v16, -v50
	v_add_f32_e32 v23, v32, v23
	v_add_f32_e32 v32, v52, v37
	v_mul_f32_e32 v37, 0x3eedf032, v35
	v_fmamk_f32 v52, v17, 0xbeb58ec6, v40
	v_add_f32_e32 v54, v54, v55
	v_fmac_f32_e32 v50, 0xbeb58ec6, v16
	v_fma_f32 v40, 0xbeb58ec6, v17, -v40
	v_fma_f32 v55, 0x3f62ad3f, v16, -v37
	v_add_f32_e32 v38, v52, v38
	v_mul_f32_e32 v52, 0x3eedf032, v34
	v_add_f32_e32 v44, v50, v44
	v_add_f32_e32 v40, v40, v45
	;; [unrolled: 1-line block ×3, first 2 shown]
	v_mul_f32_e32 v50, 0xbf52af12, v35
	v_fmac_f32_e32 v37, 0x3f62ad3f, v16
	v_mul_f32_e32 v55, 0xbf52af12, v34
	v_add_f32_e32 v43, v43, v58
	v_fmamk_f32 v53, v17, 0x3f62ad3f, v52
	v_fma_f32 v52, 0x3f62ad3f, v17, -v52
	v_fma_f32 v57, 0x3f116cb1, v16, -v50
	v_add_f32_e32 v37, v37, v41
	v_fmamk_f32 v41, v17, 0x3f116cb1, v55
	v_mul_f32_e32 v35, 0xbf29c268, v35
	v_fmac_f32_e32 v50, 0x3f116cb1, v16
	v_add_f32_e32 v22, v52, v22
	v_mul_f32_e32 v34, 0xbf29c268, v34
	v_add_f32_e32 v41, v41, v43
	v_fma_f32 v43, 0x3f116cb1, v17, -v55
	v_fma_f32 v52, 0xbf3f9e67, v16, -v35
	v_add_f32_e32 v47, v50, v47
	v_sub_f32_e32 v50, v5, v11
	v_fmac_f32_e32 v35, 0xbf3f9e67, v16
	v_add_f32_e32 v39, v43, v39
	v_add_f32_e32 v43, v52, v51
	;; [unrolled: 1-line block ×3, first 2 shown]
	v_mul_f32_e32 v52, 0xbf6f5d39, v50
	v_sub_f32_e32 v4, v4, v10
	v_fmamk_f32 v55, v17, 0xbf3f9e67, v34
	v_fma_f32 v10, 0xbf3f9e67, v17, -v34
	v_add_f32_e32 v5, v11, v5
	v_fma_f32 v16, 0xbeb58ec6, v51, -v52
	v_mul_f32_e32 v11, 0xbf6f5d39, v4
	v_add_f32_e32 v17, v35, v18
	v_mul_f32_e32 v18, 0x3f29c268, v50
	v_add_f32_e32 v10, v10, v19
	v_add_f32_e32 v16, v16, v21
	v_fmamk_f32 v19, v5, 0xbeb58ec6, v11
	v_fma_f32 v11, 0xbeb58ec6, v5, -v11
	v_mul_f32_e32 v21, 0x3f29c268, v4
	v_fma_f32 v34, 0xbf3f9e67, v51, -v18
	v_fmac_f32_e32 v18, 0xbf3f9e67, v51
	v_add_f32_e32 v19, v19, v33
	v_add_f32_e32 v11, v11, v20
	v_fmamk_f32 v20, v5, 0xbf3f9e67, v21
	v_add_f32_e32 v33, v34, v48
	v_mul_f32_e32 v34, 0x3eedf032, v50
	v_fma_f32 v21, 0xbf3f9e67, v5, -v21
	v_mul_f32_e32 v35, 0x3eedf032, v4
	v_add_f32_e32 v20, v20, v36
	v_add_f32_e32 v18, v18, v23
	v_fma_f32 v36, 0x3f62ad3f, v51, -v34
	v_add_f32_e32 v21, v21, v32
	v_mul_f32_e32 v23, 0xbf7e222b, v50
	v_fmamk_f32 v32, v5, 0x3f62ad3f, v35
	v_fmac_f32_e32 v34, 0x3f62ad3f, v51
	v_fmac_f32_e32 v52, 0xbeb58ec6, v51
	v_fma_f32 v35, 0x3f62ad3f, v5, -v35
	v_fma_f32 v48, 0x3df6dbef, v51, -v23
	v_add_f32_e32 v32, v32, v38
	v_mul_f32_e32 v38, 0xbf7e222b, v4
	v_add_f32_e32 v34, v34, v44
	v_mul_f32_e32 v44, 0x3e750f2a, v50
	v_add_f32_e32 v46, v57, v46
	v_add_f32_e32 v30, v52, v30
	;; [unrolled: 1-line block ×4, first 2 shown]
	v_fmamk_f32 v45, v5, 0x3df6dbef, v38
	v_fmac_f32_e32 v23, 0x3df6dbef, v51
	v_mul_f32_e32 v48, 0x3e750f2a, v4
	v_fma_f32 v38, 0x3df6dbef, v5, -v38
	v_fma_f32 v52, 0xbf788fa5, v51, -v44
	v_fmac_f32_e32 v44, 0xbf788fa5, v51
	v_add_f32_e32 v23, v23, v37
	v_fmamk_f32 v37, v5, 0xbf788fa5, v48
	v_add_f32_e32 v22, v38, v22
	v_add_f32_e32 v38, v52, v46
	v_mul_f32_e32 v46, 0x3f52af12, v50
	v_add_f32_e32 v44, v44, v47
	v_add_f32_e32 v37, v37, v41
	v_fma_f32 v41, 0xbf788fa5, v5, -v48
	v_sub_f32_e32 v47, v7, v9
	v_fma_f32 v48, 0x3f116cb1, v51, -v46
	v_mul_f32_e32 v4, 0x3f52af12, v4
	v_fmac_f32_e32 v46, 0x3f116cb1, v51
	v_add_f32_e32 v39, v41, v39
	v_add_f32_e32 v7, v9, v7
	;; [unrolled: 1-line block ×4, first 2 shown]
	v_mul_f32_e32 v48, 0xbf29c268, v47
	v_sub_f32_e32 v6, v6, v8
	v_fmamk_f32 v50, v5, 0x3f116cb1, v4
	v_fma_f32 v4, 0x3f116cb1, v5, -v4
	v_add_f32_e32 v9, v46, v17
	v_fma_f32 v5, 0xbf3f9e67, v43, -v48
	v_mul_f32_e32 v8, 0xbf29c268, v6
	v_mul_f32_e32 v17, 0x3f7e222b, v6
	v_add_f32_e32 v4, v4, v10
	v_mul_f32_e32 v10, 0x3f7e222b, v47
	v_add_f32_e32 v5, v5, v16
	v_fmamk_f32 v16, v7, 0xbf3f9e67, v8
	v_fma_f32 v8, 0xbf3f9e67, v7, -v8
	v_fmac_f32_e32 v48, 0xbf3f9e67, v43
	v_fma_f32 v46, 0x3df6dbef, v43, -v10
	v_fmac_f32_e32 v10, 0x3df6dbef, v43
	v_add_f32_e32 v16, v16, v19
	v_add_f32_e32 v8, v8, v11
	v_fmamk_f32 v11, v7, 0x3df6dbef, v17
	v_add_f32_e32 v19, v48, v30
	v_add_f32_e32 v30, v46, v33
	v_mul_f32_e32 v33, 0xbf52af12, v47
	v_fma_f32 v17, 0x3df6dbef, v7, -v17
	v_add_f32_e32 v11, v11, v20
	v_mul_f32_e32 v20, 0xbf52af12, v6
	v_add_f32_e32 v36, v36, v54
	v_fma_f32 v46, 0x3f116cb1, v43, -v33
	v_add_f32_e32 v10, v10, v18
	v_add_f32_e32 v17, v17, v21
	v_mul_f32_e32 v18, 0x3e750f2a, v47
	v_fmamk_f32 v21, v7, 0x3f116cb1, v20
	v_fma_f32 v20, 0x3f116cb1, v7, -v20
	v_add_f32_e32 v36, v46, v36
	v_fmac_f32_e32 v33, 0x3f116cb1, v43
	v_fma_f32 v46, 0xbf788fa5, v43, -v18
	v_add_f32_e32 v21, v21, v32
	v_mul_f32_e32 v32, 0x3e750f2a, v6
	v_add_f32_e32 v20, v20, v35
	v_mul_f32_e32 v35, 0x3eedf032, v47
	v_add_f32_e32 v53, v53, v56
	v_add_f32_e32 v33, v33, v34
	;; [unrolled: 1-line block ×3, first 2 shown]
	v_fmamk_f32 v40, v7, 0xbf788fa5, v32
	v_fmac_f32_e32 v18, 0xbf788fa5, v43
	v_mul_f32_e32 v46, 0x3eedf032, v6
	v_fma_f32 v32, 0xbf788fa5, v7, -v32
	v_fma_f32 v48, 0x3f62ad3f, v43, -v35
	v_add_f32_e32 v45, v45, v53
	v_add_f32_e32 v23, v18, v23
	v_fmamk_f32 v18, v7, 0x3f62ad3f, v46
	v_add_f32_e32 v22, v32, v22
	v_add_f32_e32 v32, v48, v38
	v_mul_f32_e32 v38, 0xbf6f5d39, v47
	v_fmac_f32_e32 v35, 0x3f62ad3f, v43
	v_add_f32_e32 v40, v40, v45
	v_add_f32_e32 v37, v18, v37
	v_fma_f32 v18, 0x3f62ad3f, v7, -v46
	v_fma_f32 v45, 0xbeb58ec6, v43, -v38
	v_add_f32_e32 v35, v35, v44
	v_sub_f32_e32 v44, v1, v3
	v_mul_f32_e32 v6, 0xbf6f5d39, v6
	v_add_f32_e32 v39, v18, v39
	v_add_f32_e32 v41, v45, v41
	;; [unrolled: 1-line block ×3, first 2 shown]
	v_mul_f32_e32 v18, 0xbe750f2a, v44
	v_sub_f32_e32 v2, v0, v2
	v_fmamk_f32 v46, v7, 0xbeb58ec6, v6
	v_fmac_f32_e32 v38, 0xbeb58ec6, v43
	v_fma_f32 v0, 0xbeb58ec6, v7, -v6
	v_fma_f32 v6, 0xbf788fa5, v45, -v18
	v_add_f32_e32 v3, v3, v1
	v_mul_f32_e32 v1, 0xbe750f2a, v2
	v_add_f32_e32 v38, v38, v9
	v_add_f32_e32 v43, v0, v4
	;; [unrolled: 1-line block ×3, first 2 shown]
	v_mul_f32_e32 v9, 0x3eedf032, v44
	v_fma_f32 v5, 0xbf788fa5, v3, -v1
	v_mul_f32_e32 v7, 0x3eedf032, v2
	v_fmamk_f32 v4, v3, 0xbf788fa5, v1
	v_fmac_f32_e32 v18, 0xbf788fa5, v45
	v_fma_f32 v6, 0x3f62ad3f, v45, -v9
	v_add_f32_e32 v5, v5, v8
	v_fmamk_f32 v8, v3, 0x3f62ad3f, v7
	v_add_f32_e32 v1, v4, v16
	v_add_f32_e32 v4, v18, v19
	;; [unrolled: 1-line block ×3, first 2 shown]
	v_fmac_f32_e32 v9, 0x3f62ad3f, v45
	v_mul_f32_e32 v16, 0xbf29c268, v44
	v_fma_f32 v18, 0x3f62ad3f, v3, -v7
	v_add_f32_e32 v7, v8, v11
	v_mul_f32_e32 v11, 0xbf29c268, v2
	v_mul_f32_e32 v30, 0x3f52af12, v44
	v_add_f32_e32 v8, v9, v10
	v_fma_f32 v10, 0xbf3f9e67, v45, -v16
	v_add_f32_e32 v9, v18, v17
	v_fmamk_f32 v17, v3, 0xbf3f9e67, v11
	v_fmac_f32_e32 v16, 0xbf3f9e67, v45
	v_fma_f32 v18, 0xbf3f9e67, v3, -v11
	v_fma_f32 v19, 0x3f116cb1, v45, -v30
	v_fmac_f32_e32 v30, 0x3f116cb1, v45
	v_add_f32_e32 v11, v17, v21
	v_add_f32_e32 v16, v16, v33
	v_mul_f32_e32 v21, 0x3f52af12, v2
	v_add_f32_e32 v17, v18, v20
	v_add_f32_e32 v18, v19, v34
	v_mul_f32_e32 v33, 0xbf6f5d39, v44
	v_mul_f32_e32 v34, 0xbf6f5d39, v2
	v_add_f32_e32 v10, v10, v36
	v_fmamk_f32 v19, v3, 0x3f116cb1, v21
	v_fma_f32 v21, 0x3f116cb1, v3, -v21
	v_fma_f32 v36, 0xbeb58ec6, v45, -v33
	v_fmamk_f32 v47, v3, 0xbeb58ec6, v34
	v_add_f32_e32 v20, v30, v23
	v_and_b32_e32 v30, 0xff, v24
	v_add_f32_e32 v21, v21, v22
	v_add_f32_e32 v22, v36, v32
	;; [unrolled: 1-line block ×3, first 2 shown]
	v_mul_f32_e32 v36, 0x3f7e222b, v44
	v_mul_f32_e32 v37, 0x3f7e222b, v2
	v_mul_lo_u16 v2, 0x4f, v30
	v_fmac_f32_e32 v33, 0xbeb58ec6, v45
	v_fma_f32 v34, 0xbeb58ec6, v3, -v34
	v_fma_f32 v30, 0x3df6dbef, v45, -v36
	v_fmac_f32_e32 v36, 0x3df6dbef, v45
	v_lshrrev_b16 v2, 10, v2
	v_add_f32_e32 v32, v33, v35
	v_add_f32_e32 v33, v34, v39
	v_fmamk_f32 v35, v3, 0x3df6dbef, v37
	v_fma_f32 v3, 0x3df6dbef, v3, -v37
	v_add_f32_e32 v34, v30, v41
	v_mul_lo_u16 v30, v2, 13
	v_add_f32_e32 v49, v55, v49
	v_add_f32_e32 v36, v36, v38
	;; [unrolled: 1-line block ×3, first 2 shown]
	v_mad_u32_u24 v38, 0x60, v24, v42
	v_sub_nc_u16 v3, v24, v30
	v_mov_b32_e32 v30, 12
	v_add_f32_e32 v49, v50, v49
	ds_write2_b64 v38, v[12:13], v[0:1] offset1:1
	ds_write2_b64 v38, v[6:7], v[10:11] offset0:2 offset1:3
	v_add_f32_e32 v19, v19, v40
	v_mul_u32_u24_sdwa v0, v3, v30 dst_sel:DWORD dst_unused:UNUSED_PAD src0_sel:BYTE_0 src1_sel:DWORD
	v_add_f32_e32 v46, v46, v49
	v_lshl_add_u32 v45, v29, 3, 0
	v_lshl_add_u32 v44, v31, 3, 0
	;; [unrolled: 1-line block ×3, first 2 shown]
	v_lshlrev_b32_e32 v0, 3, v0
	v_add_f32_e32 v35, v35, v46
	ds_write2_b64 v38, v[18:19], v[22:23] offset0:4 offset1:5
	ds_write2_b64 v38, v[34:35], v[36:37] offset0:6 offset1:7
	;; [unrolled: 1-line block ×4, first 2 shown]
	ds_write_b64 v38, v[4:5] offset:96
	s_waitcnt lgkmcnt(0)
	s_barrier
	buffer_gl0_inv
	s_clause 0x5
	global_load_dwordx4 v[10:13], v0, s[8:9] offset:32
	global_load_dwordx4 v[16:19], v0, s[8:9] offset:48
	;; [unrolled: 1-line block ×3, first 2 shown]
	global_load_dwordx4 v[32:35], v0, s[8:9]
	global_load_dwordx4 v[36:39], v0, s[8:9] offset:16
	global_load_dwordx4 v[46:49], v0, s[8:9] offset:80
	ds_read2_b64 v[50:53], v25 offset0:4 offset1:56
	ds_read2_b64 v[54:57], v25 offset0:108 offset1:160
	v_add_nc_u32_e32 v0, 0xc00, v42
	ds_read_b64 v[40:41], v44
	ds_read_b64 v[66:67], v43
	ds_read2_b64 v[58:61], v0 offset0:84 offset1:136
	s_waitcnt vmcnt(5) lgkmcnt(4)
	v_mul_f32_e32 v0, v51, v11
	v_mul_f32_e32 v1, v53, v13
	;; [unrolled: 1-line block ×4, first 2 shown]
	s_waitcnt vmcnt(4) lgkmcnt(3)
	v_mul_f32_e32 v7, v55, v17
	v_fma_f32 v9, v50, v10, -v0
	v_fma_f32 v5, v52, v12, -v1
	ds_read_b64 v[0:1], v45
	v_fmac_f32_e32 v8, v51, v10
	v_fmac_f32_e32 v4, v53, v12
	ds_read2_b64 v[50:53], v15 offset0:60 offset1:112
	ds_read2_b64 v[62:65], v42 offset1:208
	v_mul_f32_e32 v6, v54, v17
	v_fma_f32 v7, v54, v16, -v7
	s_waitcnt vmcnt(3) lgkmcnt(3)
	v_mul_f32_e32 v13, v59, v21
	v_mul_f32_e32 v12, v58, v21
	;; [unrolled: 1-line block ×3, first 2 shown]
	v_fmac_f32_e32 v6, v55, v16
	v_mul_f32_e32 v16, v61, v23
	v_mul_f32_e32 v10, v56, v19
	;; [unrolled: 1-line block ×3, first 2 shown]
	v_fma_f32 v13, v58, v20, -v13
	v_fmac_f32_e32 v12, v59, v20
	v_fma_f32 v19, v60, v22, -v16
	s_waitcnt vmcnt(2)
	v_mul_f32_e32 v16, v35, v41
	v_fma_f32 v11, v56, v18, -v11
	v_fmac_f32_e32 v10, v57, v18
	v_fmac_f32_e32 v17, v61, v22
	s_waitcnt lgkmcnt(2)
	v_mul_f32_e32 v20, v33, v0
	v_mul_f32_e32 v18, v33, v1
	s_waitcnt vmcnt(0) lgkmcnt(1)
	v_mul_f32_e32 v22, v52, v49
	s_waitcnt lgkmcnt(0)
	v_mul_f32_e32 v23, v39, v65
	v_mul_f32_e32 v21, v37, v66
	v_fmac_f32_e32 v20, v32, v1
	v_fma_f32 v1, v34, v40, -v16
	v_mul_f32_e32 v16, v37, v67
	v_fma_f32 v0, v32, v0, -v18
	v_mul_f32_e32 v18, v35, v40
	v_mul_f32_e32 v32, v53, v49
	v_fmac_f32_e32 v22, v53, v48
	v_fma_f32 v30, v36, v66, -v16
	v_mul_f32_e32 v16, v39, v64
	v_fmac_f32_e32 v18, v34, v41
	v_fma_f32 v23, v38, v64, -v23
	v_fma_f32 v32, v52, v48, -v32
	v_sub_f32_e32 v34, v20, v22
	v_fmac_f32_e32 v16, v38, v65
	v_add_f32_e32 v38, v20, v22
	v_add_f32_e32 v20, v20, v63
	v_fmac_f32_e32 v21, v36, v67
	v_add_f32_e32 v36, v0, v32
	v_sub_f32_e32 v40, v0, v32
	v_add_f32_e32 v0, v0, v62
	v_add_f32_e32 v20, v20, v18
	v_mul_f32_e32 v33, v51, v47
	v_mul_f32_e32 v35, v50, v47
	;; [unrolled: 1-line block ×3, first 2 shown]
	v_add_f32_e32 v0, v0, v1
	v_add_f32_e32 v20, v20, v21
	v_fma_f32 v33, v50, v46, -v33
	v_fmac_f32_e32 v35, v51, v46
	v_mul_f32_e32 v39, 0xbf52af12, v34
	v_add_f32_e32 v0, v0, v30
	v_add_f32_e32 v20, v20, v16
	v_mul_f32_e32 v46, 0xbf7e222b, v34
	v_mul_f32_e32 v48, 0xbf6f5d39, v34
	v_mul_f32_e32 v50, 0xbf29c268, v34
	v_add_f32_e32 v0, v0, v23
	v_add_f32_e32 v20, v20, v8
	v_mul_f32_e32 v34, 0xbe750f2a, v34
	v_fma_f32 v41, 0x3f62ad3f, v36, -v37
	v_fmac_f32_e32 v37, 0x3f62ad3f, v36
	v_add_f32_e32 v0, v0, v9
	v_add_f32_e32 v20, v20, v4
	v_fma_f32 v47, 0x3f116cb1, v36, -v39
	v_fmac_f32_e32 v39, 0x3f116cb1, v36
	v_fma_f32 v49, 0x3df6dbef, v36, -v46
	v_add_f32_e32 v0, v0, v5
	v_add_f32_e32 v20, v20, v6
	v_fmac_f32_e32 v46, 0x3df6dbef, v36
	v_fma_f32 v51, 0xbeb58ec6, v36, -v48
	v_fmac_f32_e32 v48, 0xbeb58ec6, v36
	v_add_f32_e32 v0, v0, v7
	v_add_f32_e32 v20, v20, v10
	v_fma_f32 v52, 0xbf3f9e67, v36, -v50
	v_mul_f32_e32 v53, 0xbeedf032, v40
	v_fmac_f32_e32 v50, 0xbf3f9e67, v36
	v_fma_f32 v54, 0xbf788fa5, v36, -v34
	v_mul_f32_e32 v55, 0xbf52af12, v40
	v_fmac_f32_e32 v34, 0xbf788fa5, v36
	v_mul_f32_e32 v56, 0xbf7e222b, v40
	v_mul_f32_e32 v58, 0xbf6f5d39, v40
	;; [unrolled: 1-line block ×4, first 2 shown]
	v_add_f32_e32 v0, v0, v11
	v_add_f32_e32 v20, v20, v12
	v_fmamk_f32 v36, v38, 0x3f62ad3f, v53
	v_fma_f32 v53, 0x3f62ad3f, v38, -v53
	v_fmamk_f32 v57, v38, 0x3f116cb1, v55
	v_fma_f32 v55, 0x3f116cb1, v38, -v55
	v_fmamk_f32 v59, v38, 0x3df6dbef, v56
	v_fma_f32 v56, 0x3df6dbef, v38, -v56
	v_fmamk_f32 v61, v38, 0xbeb58ec6, v58
	v_fma_f32 v58, 0xbeb58ec6, v38, -v58
	v_fmamk_f32 v64, v38, 0xbf3f9e67, v60
	v_fma_f32 v60, 0xbf3f9e67, v38, -v60
	v_fmamk_f32 v65, v38, 0xbf788fa5, v40
	v_fma_f32 v38, 0xbf788fa5, v38, -v40
	v_add_f32_e32 v40, v41, v62
	v_add_f32_e32 v37, v37, v62
	;; [unrolled: 1-line block ×13, first 2 shown]
	v_sub_f32_e32 v62, v18, v35
	v_add_f32_e32 v20, v20, v17
	v_sub_f32_e32 v66, v1, v33
	v_add_f32_e32 v41, v53, v63
	v_add_f32_e32 v53, v57, v63
	;; [unrolled: 1-line block ×8, first 2 shown]
	v_mul_f32_e32 v67, 0xbf52af12, v62
	v_add_f32_e32 v1, v20, v35
	v_add_f32_e32 v18, v18, v35
	v_mul_f32_e32 v20, 0xbf52af12, v66
	v_add_f32_e32 v36, v36, v63
	v_add_f32_e32 v0, v0, v33
	v_fma_f32 v33, 0x3f116cb1, v65, -v67
	v_add_f32_e32 v1, v1, v22
	v_fmamk_f32 v22, v18, 0x3f116cb1, v20
	v_fma_f32 v20, 0x3f116cb1, v18, -v20
	v_add_f32_e32 v0, v0, v32
	v_add_f32_e32 v32, v33, v40
	v_mul_f32_e32 v33, 0xbf6f5d39, v62
	v_add_f32_e32 v22, v22, v36
	v_mul_f32_e32 v36, 0xbf6f5d39, v66
	v_add_f32_e32 v35, v38, v63
	v_add_f32_e32 v20, v20, v41
	v_fma_f32 v38, 0xbeb58ec6, v65, -v33
	v_mul_f32_e32 v40, 0xbe750f2a, v62
	v_fmamk_f32 v41, v18, 0xbeb58ec6, v36
	v_fmac_f32_e32 v33, 0xbeb58ec6, v65
	v_add_f32_e32 v55, v55, v63
	v_add_f32_e32 v38, v38, v47
	v_fma_f32 v47, 0xbf788fa5, v65, -v40
	v_add_f32_e32 v41, v41, v53
	v_mul_f32_e32 v53, 0xbe750f2a, v66
	v_add_f32_e32 v56, v56, v63
	v_fma_f32 v36, 0xbeb58ec6, v18, -v36
	v_add_f32_e32 v33, v33, v39
	v_add_f32_e32 v39, v47, v49
	v_mul_f32_e32 v47, 0x3f29c268, v62
	v_fmamk_f32 v49, v18, 0xbf788fa5, v53
	v_fmac_f32_e32 v40, 0xbf788fa5, v65
	v_fma_f32 v53, 0xbf788fa5, v18, -v53
	v_add_f32_e32 v58, v58, v63
	v_add_f32_e32 v60, v60, v63
	v_add_f32_e32 v36, v36, v55
	v_mul_f32_e32 v55, 0x3f29c268, v66
	v_fma_f32 v63, 0xbf3f9e67, v65, -v47
	v_add_f32_e32 v40, v40, v46
	v_add_f32_e32 v46, v53, v56
	v_fmac_f32_e32 v47, 0xbf3f9e67, v65
	v_mul_f32_e32 v56, 0x3f7e222b, v62
	v_add_f32_e32 v49, v49, v57
	v_fmamk_f32 v53, v18, 0xbf3f9e67, v55
	v_mul_f32_e32 v57, 0x3f7e222b, v66
	v_add_f32_e32 v47, v47, v48
	v_fma_f32 v48, 0x3df6dbef, v65, -v56
	v_fmac_f32_e32 v56, 0x3df6dbef, v65
	v_add_f32_e32 v53, v53, v59
	v_fma_f32 v55, 0xbf3f9e67, v18, -v55
	v_fmamk_f32 v59, v18, 0x3df6dbef, v57
	v_add_f32_e32 v48, v48, v52
	v_add_f32_e32 v50, v56, v50
	v_mul_f32_e32 v56, 0x3eedf032, v66
	v_add_f32_e32 v55, v55, v58
	v_mul_f32_e32 v58, 0x3eedf032, v62
	v_add_f32_e32 v52, v59, v61
	v_fma_f32 v57, 0x3df6dbef, v18, -v57
	v_sub_f32_e32 v61, v21, v17
	v_fmamk_f32 v62, v18, 0x3f62ad3f, v56
	v_fma_f32 v18, 0x3f62ad3f, v18, -v56
	v_add_f32_e32 v56, v30, v19
	v_sub_f32_e32 v19, v30, v19
	v_fma_f32 v59, 0x3f62ad3f, v65, -v58
	v_fmac_f32_e32 v58, 0x3f62ad3f, v65
	v_mul_f32_e32 v30, 0xbf7e222b, v61
	v_add_f32_e32 v17, v21, v17
	v_mul_f32_e32 v21, 0xbf7e222b, v19
	v_fmac_f32_e32 v67, 0x3f116cb1, v65
	v_add_f32_e32 v54, v59, v54
	v_fma_f32 v59, 0x3df6dbef, v56, -v30
	v_add_f32_e32 v34, v58, v34
	v_add_f32_e32 v18, v18, v35
	v_fmamk_f32 v35, v17, 0x3df6dbef, v21
	v_mul_f32_e32 v58, 0xbe750f2a, v61
	v_fma_f32 v21, 0x3df6dbef, v17, -v21
	v_add_f32_e32 v37, v67, v37
	v_add_f32_e32 v32, v59, v32
	v_fmac_f32_e32 v30, 0x3df6dbef, v56
	v_add_f32_e32 v22, v35, v22
	v_mul_f32_e32 v35, 0xbe750f2a, v19
	v_fma_f32 v59, 0xbf788fa5, v56, -v58
	v_add_f32_e32 v20, v21, v20
	v_mul_f32_e32 v21, 0x3f6f5d39, v61
	v_add_f32_e32 v30, v30, v37
	v_fmamk_f32 v37, v17, 0xbf788fa5, v35
	v_add_f32_e32 v38, v59, v38
	v_fma_f32 v35, 0xbf788fa5, v17, -v35
	v_fma_f32 v59, 0xbeb58ec6, v56, -v21
	v_fmac_f32_e32 v58, 0xbf788fa5, v56
	v_add_f32_e32 v37, v37, v41
	v_mul_f32_e32 v41, 0x3f6f5d39, v19
	v_add_f32_e32 v35, v35, v36
	v_add_f32_e32 v36, v59, v39
	v_mul_f32_e32 v39, 0x3eedf032, v61
	v_add_f32_e32 v51, v63, v51
	v_add_f32_e32 v57, v57, v60
	;; [unrolled: 1-line block ×4, first 2 shown]
	v_fmamk_f32 v58, v17, 0xbeb58ec6, v41
	v_fmac_f32_e32 v21, 0xbeb58ec6, v56
	v_fma_f32 v41, 0xbeb58ec6, v17, -v41
	v_mul_f32_e32 v59, 0x3eedf032, v19
	v_fma_f32 v62, 0x3f62ad3f, v56, -v39
	v_add_f32_e32 v49, v58, v49
	v_add_f32_e32 v21, v21, v40
	;; [unrolled: 1-line block ×3, first 2 shown]
	v_fmamk_f32 v41, v17, 0x3f62ad3f, v59
	v_add_f32_e32 v46, v62, v51
	v_mul_f32_e32 v51, 0xbf52af12, v61
	v_fmac_f32_e32 v39, 0x3f62ad3f, v56
	v_fma_f32 v58, 0x3f62ad3f, v17, -v59
	v_add_f32_e32 v41, v41, v53
	v_mul_f32_e32 v53, 0xbf52af12, v19
	v_fma_f32 v59, 0x3f116cb1, v56, -v51
	v_add_f32_e32 v39, v39, v47
	v_add_f32_e32 v47, v58, v55
	v_mul_f32_e32 v55, 0xbf29c268, v61
	v_fmamk_f32 v58, v17, 0x3f116cb1, v53
	v_add_f32_e32 v48, v59, v48
	v_fmac_f32_e32 v51, 0x3f116cb1, v56
	v_fma_f32 v53, 0x3f116cb1, v17, -v53
	v_fma_f32 v59, 0xbf3f9e67, v56, -v55
	v_mul_f32_e32 v19, 0xbf29c268, v19
	v_add_f32_e32 v52, v58, v52
	v_add_f32_e32 v50, v51, v50
	;; [unrolled: 1-line block ×4, first 2 shown]
	v_sub_f32_e32 v54, v16, v12
	v_fmamk_f32 v57, v17, 0xbf3f9e67, v19
	v_sub_f32_e32 v58, v23, v13
	v_add_f32_e32 v13, v23, v13
	v_fma_f32 v17, 0xbf3f9e67, v17, -v19
	v_mul_f32_e32 v23, 0xbf6f5d39, v54
	v_fmac_f32_e32 v55, 0xbf3f9e67, v56
	v_add_f32_e32 v12, v16, v12
	v_mul_f32_e32 v16, 0xbf6f5d39, v58
	v_add_f32_e32 v17, v17, v18
	v_fma_f32 v56, 0xbeb58ec6, v13, -v23
	v_mul_f32_e32 v18, 0x3f29c268, v54
	v_add_f32_e32 v19, v57, v60
	v_add_f32_e32 v34, v55, v34
	v_fmamk_f32 v55, v12, 0xbeb58ec6, v16
	v_add_f32_e32 v32, v56, v32
	v_fmac_f32_e32 v23, 0xbeb58ec6, v13
	v_fma_f32 v16, 0xbeb58ec6, v12, -v16
	v_mul_f32_e32 v56, 0x3f29c268, v58
	v_fma_f32 v57, 0xbf3f9e67, v13, -v18
	v_add_f32_e32 v22, v55, v22
	v_add_f32_e32 v23, v23, v30
	;; [unrolled: 1-line block ×3, first 2 shown]
	v_fmamk_f32 v20, v12, 0xbf3f9e67, v56
	v_add_f32_e32 v30, v57, v38
	v_mul_f32_e32 v38, 0x3eedf032, v54
	v_fmac_f32_e32 v18, 0xbf3f9e67, v13
	v_mul_f32_e32 v55, 0x3eedf032, v58
	v_add_f32_e32 v20, v20, v37
	v_fma_f32 v37, 0xbf3f9e67, v12, -v56
	v_fma_f32 v56, 0x3f62ad3f, v13, -v38
	v_mul_f32_e32 v57, 0xbf7e222b, v54
	v_add_f32_e32 v18, v18, v33
	v_fmamk_f32 v33, v12, 0x3f62ad3f, v55
	v_add_f32_e32 v35, v37, v35
	v_add_f32_e32 v36, v56, v36
	v_fmac_f32_e32 v38, 0x3f62ad3f, v13
	v_fma_f32 v37, 0x3f62ad3f, v12, -v55
	v_fma_f32 v55, 0x3df6dbef, v13, -v57
	v_mul_f32_e32 v56, 0xbf7e222b, v58
	v_add_f32_e32 v33, v33, v49
	v_add_f32_e32 v21, v38, v21
	;; [unrolled: 1-line block ×4, first 2 shown]
	v_fmamk_f32 v40, v12, 0x3df6dbef, v56
	v_mul_f32_e32 v46, 0x3e750f2a, v54
	v_mul_f32_e32 v49, 0x3e750f2a, v58
	v_fma_f32 v55, 0x3df6dbef, v12, -v56
	v_mul_f32_e32 v54, 0x3f52af12, v54
	v_add_f32_e32 v40, v40, v41
	v_fma_f32 v41, 0xbf788fa5, v13, -v46
	v_fmamk_f32 v56, v12, 0xbf788fa5, v49
	v_fmac_f32_e32 v46, 0xbf788fa5, v13
	v_fma_f32 v49, 0xbf788fa5, v12, -v49
	v_add_f32_e32 v47, v55, v47
	v_add_f32_e32 v41, v41, v48
	;; [unrolled: 1-line block ×3, first 2 shown]
	v_fma_f32 v52, 0x3f116cb1, v13, -v54
	v_add_f32_e32 v46, v46, v50
	v_sub_f32_e32 v50, v8, v10
	v_mul_f32_e32 v55, 0x3f52af12, v58
	v_add_f32_e32 v49, v49, v51
	v_add_f32_e32 v51, v52, v53
	;; [unrolled: 1-line block ×3, first 2 shown]
	v_mul_f32_e32 v56, 0xbf29c268, v50
	v_sub_f32_e32 v9, v9, v11
	v_fmamk_f32 v52, v12, 0x3f116cb1, v55
	v_fma_f32 v11, 0x3f116cb1, v12, -v55
	v_add_f32_e32 v8, v8, v10
	v_fma_f32 v10, 0xbf3f9e67, v53, -v56
	v_mul_f32_e32 v12, 0xbf29c268, v9
	v_fmac_f32_e32 v54, 0x3f116cb1, v13
	v_add_f32_e32 v11, v11, v17
	v_fmac_f32_e32 v57, 0x3df6dbef, v13
	v_add_f32_e32 v10, v10, v32
	v_fmamk_f32 v17, v8, 0xbf3f9e67, v12
	v_mul_f32_e32 v32, 0x3f7e222b, v50
	v_add_f32_e32 v13, v52, v19
	v_add_f32_e32 v19, v54, v34
	v_fma_f32 v12, 0xbf3f9e67, v8, -v12
	v_mul_f32_e32 v34, 0x3f7e222b, v9
	v_add_f32_e32 v17, v17, v22
	v_fma_f32 v22, 0x3df6dbef, v53, -v32
	v_mul_f32_e32 v52, 0xbf52af12, v50
	v_add_f32_e32 v12, v12, v16
	v_fmamk_f32 v16, v8, 0x3df6dbef, v34
	v_fmac_f32_e32 v32, 0x3df6dbef, v53
	v_add_f32_e32 v22, v22, v30
	v_fma_f32 v30, 0x3df6dbef, v8, -v34
	v_mul_f32_e32 v34, 0xbf52af12, v9
	v_add_f32_e32 v16, v16, v20
	v_fma_f32 v20, 0x3f116cb1, v53, -v52
	v_add_f32_e32 v18, v32, v18
	v_add_f32_e32 v30, v30, v35
	v_mul_f32_e32 v32, 0x3e750f2a, v50
	v_fmamk_f32 v35, v8, 0x3f116cb1, v34
	v_fma_f32 v34, 0x3f116cb1, v8, -v34
	v_mul_f32_e32 v54, 0x3e750f2a, v9
	v_add_f32_e32 v20, v20, v36
	v_fmac_f32_e32 v52, 0x3f116cb1, v53
	v_fma_f32 v36, 0xbf788fa5, v53, -v32
	v_add_f32_e32 v35, v35, v33
	v_add_f32_e32 v34, v34, v37
	v_fmamk_f32 v33, v8, 0xbf788fa5, v54
	v_mul_f32_e32 v37, 0x3eedf032, v50
	v_add_f32_e32 v39, v57, v39
	v_add_f32_e32 v21, v52, v21
	;; [unrolled: 1-line block ×3, first 2 shown]
	v_fmac_f32_e32 v32, 0xbf788fa5, v53
	v_fma_f32 v38, 0xbf788fa5, v8, -v54
	v_mul_f32_e32 v52, 0x3eedf032, v9
	v_add_f32_e32 v40, v33, v40
	v_fma_f32 v33, 0x3f62ad3f, v53, -v37
	v_add_f32_e32 v39, v32, v39
	v_add_f32_e32 v38, v38, v47
	v_fmamk_f32 v32, v8, 0x3f62ad3f, v52
	v_mul_f32_e32 v47, 0xbf6f5d39, v50
	v_add_f32_e32 v41, v33, v41
	v_fmac_f32_e32 v37, 0x3f62ad3f, v53
	v_fma_f32 v33, 0x3f62ad3f, v8, -v52
	v_add_f32_e32 v48, v32, v48
	v_fma_f32 v32, 0xbeb58ec6, v53, -v47
	v_mul_f32_e32 v9, 0xbf6f5d39, v9
	v_add_f32_e32 v37, v37, v46
	v_add_f32_e32 v46, v33, v49
	v_sub_f32_e32 v49, v4, v6
	v_sub_f32_e32 v52, v5, v7
	v_fmac_f32_e32 v56, 0xbf3f9e67, v53
	v_add_f32_e32 v50, v32, v51
	v_add_f32_e32 v51, v5, v7
	v_mul_f32_e32 v7, 0xbe750f2a, v49
	v_fmac_f32_e32 v47, 0xbeb58ec6, v53
	v_fma_f32 v5, 0xbeb58ec6, v8, -v9
	v_add_f32_e32 v53, v4, v6
	v_mul_f32_e32 v6, 0xbe750f2a, v52
	v_fmamk_f32 v32, v8, 0xbeb58ec6, v9
	v_fma_f32 v4, 0xbf788fa5, v51, -v7
	v_add_f32_e32 v55, v5, v11
	v_mul_f32_e32 v8, 0x3eedf032, v49
	v_fmamk_f32 v5, v53, 0xbf788fa5, v6
	v_fma_f32 v6, 0xbf788fa5, v53, -v6
	v_add_f32_e32 v4, v4, v10
	v_add_f32_e32 v23, v56, v23
	v_fma_f32 v10, 0x3f62ad3f, v51, -v8
	v_fmac_f32_e32 v7, 0xbf788fa5, v51
	v_add_f32_e32 v33, v6, v12
	v_mul_f32_e32 v12, 0xbf29c268, v49
	v_mul_f32_e32 v9, 0x3eedf032, v52
	v_add_f32_e32 v6, v10, v22
	v_fmac_f32_e32 v8, 0x3f62ad3f, v51
	v_add_f32_e32 v54, v32, v13
	v_fma_f32 v10, 0xbf3f9e67, v51, -v12
	v_fmac_f32_e32 v12, 0xbf3f9e67, v51
	v_add_f32_e32 v32, v7, v23
	v_fmamk_f32 v7, v53, 0x3f62ad3f, v9
	v_fma_f32 v9, 0x3f62ad3f, v53, -v9
	v_mul_f32_e32 v11, 0xbf29c268, v52
	v_add_f32_e32 v8, v8, v18
	v_mul_f32_e32 v18, 0x3f52af12, v49
	v_add_f32_e32 v12, v12, v21
	;; [unrolled: 2-line block ×4, first 2 shown]
	v_add_f32_e32 v7, v7, v16
	v_add_f32_e32 v9, v9, v30
	v_fmamk_f32 v13, v53, 0xbf3f9e67, v11
	v_fma_f32 v16, 0xbf3f9e67, v53, -v11
	v_fma_f32 v17, 0x3f116cb1, v51, -v18
	v_fmamk_f32 v23, v53, 0xbeb58ec6, v21
	v_fma_f32 v30, 0xbeb58ec6, v53, -v21
	v_add_f32_e32 v10, v10, v20
	v_fmamk_f32 v20, v53, 0x3f116cb1, v19
	v_mul_f32_e32 v22, 0xbf6f5d39, v49
	v_add_f32_e32 v11, v13, v35
	v_add_f32_e32 v13, v16, v34
	;; [unrolled: 1-line block ×5, first 2 shown]
	v_mov_b32_e32 v30, 0x548
	v_mov_b32_e32 v36, 3
	v_add_f32_e32 v17, v20, v40
	v_fma_f32 v19, 0x3f116cb1, v53, -v19
	v_fma_f32 v20, 0xbeb58ec6, v51, -v22
	v_fmac_f32_e32 v22, 0xbeb58ec6, v51
	v_mul_f32_e32 v34, 0x3f7e222b, v49
	v_mul_f32_e32 v35, 0x3f7e222b, v52
	v_mul_u32_u24_sdwa v30, v2, v30 dst_sel:DWORD dst_unused:UNUSED_PAD src0_sel:WORD_0 src1_sel:DWORD
	v_lshlrev_b32_sdwa v36, v36, v3 dst_sel:DWORD dst_unused:UNUSED_PAD src0_sel:DWORD src1_sel:BYTE_0
	v_add_f32_e32 v19, v19, v38
	v_add_f32_e32 v22, v22, v37
	v_fma_f32 v37, 0x3df6dbef, v51, -v34
	v_fmamk_f32 v38, v53, 0x3df6dbef, v35
	v_fmac_f32_e32 v34, 0x3df6dbef, v51
	v_fma_f32 v35, 0x3df6dbef, v53, -v35
	v_fmac_f32_e32 v18, 0x3f116cb1, v51
	v_add3_u32 v30, 0, v30, v36
	v_add_f32_e32 v20, v20, v41
	v_add_f32_e32 v2, v37, v50
	;; [unrolled: 1-line block ×6, first 2 shown]
	s_barrier
	buffer_gl0_inv
	ds_write2_b64 v30, v[0:1], v[4:5] offset1:13
	ds_write2_b64 v30, v[6:7], v[10:11] offset0:26 offset1:39
	ds_write2_b64 v30, v[16:17], v[20:21] offset0:52 offset1:65
	;; [unrolled: 1-line block ×5, first 2 shown]
	ds_write_b64 v30, v[32:33] offset:1248
	s_waitcnt lgkmcnt(0)
	s_barrier
	buffer_gl0_inv
	ds_read2_b64 v[8:11], v42 offset1:169
	ds_read2_b64 v[20:23], v25 offset0:82 offset1:134
	ds_read2_b64 v[4:7], v25 offset0:186 offset1:251
	;; [unrolled: 1-line block ×4, first 2 shown]
	ds_read_b64 v[38:39], v45
	ds_read_b64 v[36:37], v44
                                        ; implicit-def: $vgpr1
                                        ; implicit-def: $vgpr35
	s_and_saveexec_b32 s1, s0
	s_cbranch_execz .LBB0_15
; %bb.14:
	ds_read2_b64 v[0:3], v25 offset0:69 offset1:238
	ds_read_b64 v[32:33], v43
	ds_read_b64 v[34:35], v42 offset:5304
.LBB0_15:
	s_or_b32 exec_lo, exec_lo, s1
	v_mul_i32_i24_e32 v40, 3, v29
	v_mov_b32_e32 v41, 0
	v_mul_u32_u24_e32 v30, 3, v24
	v_lshlrev_b64 v[50:51], 3, v[40:41]
	v_mul_i32_i24_e32 v40, 3, v31
	v_lshlrev_b32_e32 v30, 3, v30
	s_clause 0x1
	global_load_dwordx4 v[46:49], v30, s[8:9] offset:1248
	global_load_dwordx2 v[58:59], v30, s[8:9] offset:1264
	v_lshlrev_b64 v[56:57], 3, v[40:41]
	v_add_co_u32 v54, s1, s8, v50
	v_add_co_ci_u32_e64 v55, s1, s9, v51, s1
	v_add_nc_u32_e32 v30, 0x800, v45
	v_add_co_u32 v62, s1, s8, v56
	s_clause 0x1
	global_load_dwordx4 v[50:53], v[54:55], off offset:1248
	global_load_dwordx2 v[60:61], v[54:55], off offset:1264
	v_add_co_ci_u32_e64 v63, s1, s9, v57, s1
	s_clause 0x1
	global_load_dwordx4 v[54:57], v[62:63], off offset:1248
	global_load_dwordx2 v[62:63], v[62:63], off offset:1264
	v_add_nc_u32_e32 v40, 0x800, v44
	s_waitcnt vmcnt(0) lgkmcnt(0)
	s_barrier
	buffer_gl0_inv
	v_mul_f32_e32 v64, v47, v11
	v_mul_f32_e32 v47, v47, v10
	;; [unrolled: 1-line block ×6, first 2 shown]
	v_fma_f32 v10, v46, v10, -v64
	v_fmac_f32_e32 v47, v46, v11
	v_fma_f32 v11, v48, v20, -v65
	v_fmac_f32_e32 v49, v48, v21
	;; [unrolled: 2-line block ×3, first 2 shown]
	v_mul_f32_e32 v7, v51, v17
	v_mul_f32_e32 v20, v51, v16
	;; [unrolled: 1-line block ×6, first 2 shown]
	v_sub_f32_e32 v11, v8, v11
	v_sub_f32_e32 v53, v10, v6
	v_fma_f32 v16, v50, v16, -v7
	v_fmac_f32_e32 v20, v50, v17
	v_fma_f32 v17, v52, v22, -v21
	v_fmac_f32_e32 v46, v52, v23
	;; [unrolled: 2-line block ×3, first 2 shown]
	v_mul_f32_e32 v13, v55, v19
	v_mul_f32_e32 v21, v55, v18
	;; [unrolled: 1-line block ×6, first 2 shown]
	v_sub_f32_e32 v49, v9, v49
	v_sub_f32_e32 v6, v47, v59
	v_fma_f32 v52, v8, 2.0, -v11
	v_fma_f32 v8, v10, 2.0, -v53
	v_fma_f32 v18, v54, v18, -v13
	v_fmac_f32_e32 v21, v54, v19
	v_fma_f32 v13, v4, v56, -v22
	v_fmac_f32_e32 v23, v5, v56
	;; [unrolled: 2-line block ×3, first 2 shown]
	v_sub_f32_e32 v17, v38, v17
	v_sub_f32_e32 v19, v39, v46
	;; [unrolled: 1-line block ×4, first 2 shown]
	v_fma_f32 v55, v9, 2.0, -v49
	v_fma_f32 v9, v47, 2.0, -v6
	v_sub_f32_e32 v6, v11, v6
	v_fma_f32 v22, v38, 2.0, -v17
	v_fma_f32 v38, v39, 2.0, -v19
	;; [unrolled: 1-line block ×4, first 2 shown]
	v_sub_f32_e32 v39, v36, v13
	v_sub_f32_e32 v46, v37, v23
	;; [unrolled: 1-line block ×5, first 2 shown]
	v_fma_f32 v8, v11, 2.0, -v6
	v_sub_f32_e32 v10, v17, v10
	v_add_f32_e32 v11, v19, v12
	v_sub_f32_e32 v14, v22, v15
	v_fma_f32 v47, v36, 2.0, -v39
	v_fma_f32 v48, v37, 2.0, -v46
	;; [unrolled: 1-line block ×4, first 2 shown]
	v_add_f32_e32 v7, v49, v53
	v_sub_f32_e32 v5, v55, v9
	v_sub_f32_e32 v15, v38, v16
	v_fma_f32 v16, v17, 2.0, -v10
	v_fma_f32 v17, v19, 2.0, -v11
	v_sub_f32_e32 v18, v39, v23
	v_add_f32_e32 v19, v46, v20
	v_fma_f32 v20, v22, 2.0, -v14
	v_sub_f32_e32 v22, v47, v36
	v_sub_f32_e32 v23, v48, v21
	v_fma_f32 v9, v49, 2.0, -v7
	v_fma_f32 v12, v52, 2.0, -v4
	;; [unrolled: 1-line block ×8, first 2 shown]
	ds_write2_b64 v25, v[4:5], v[6:7] offset0:82 offset1:251
	ds_write2_b64 v42, v[12:13], v[8:9] offset1:169
	ds_write2_b64 v30, v[14:15], v[10:11] offset0:82 offset1:251
	ds_write2_b64 v45, v[20:21], v[16:17] offset1:169
	ds_write2_b64 v44, v[38:39], v[36:37] offset1:169
	ds_write2_b64 v40, v[22:23], v[18:19] offset0:82 offset1:251
	s_and_saveexec_b32 s1, s0
	s_cbranch_execz .LBB0_17
; %bb.16:
	v_add_nc_u32_e32 v4, -13, v24
	v_cndmask_b32_e64 v4, v4, v28, s0
	v_mul_i32_i24_e32 v40, 3, v4
	v_lshlrev_b64 v[4:5], 3, v[40:41]
	v_add_co_u32 v8, s0, s8, v4
	v_add_co_ci_u32_e64 v9, s0, s9, v5, s0
	s_clause 0x1
	global_load_dwordx4 v[4:7], v[8:9], off offset:1248
	global_load_dwordx2 v[8:9], v[8:9], off offset:1264
	s_waitcnt vmcnt(1)
	v_mul_f32_e32 v10, v2, v7
	v_mul_f32_e32 v11, v1, v5
	s_waitcnt vmcnt(0)
	v_mul_f32_e32 v12, v35, v9
	v_mul_f32_e32 v5, v0, v5
	;; [unrolled: 1-line block ×4, first 2 shown]
	v_fmac_f32_e32 v10, v3, v6
	v_fma_f32 v0, v0, v4, -v11
	v_fmac_f32_e32 v5, v1, v4
	v_fmac_f32_e32 v9, v35, v8
	v_fma_f32 v1, v2, v6, -v7
	v_fma_f32 v2, v34, v8, -v12
	v_sub_f32_e32 v4, v33, v10
	v_sub_f32_e32 v3, v5, v9
	;; [unrolled: 1-line block ×4, first 2 shown]
	v_fma_f32 v7, v33, 2.0, -v4
	v_add_nc_u32_e32 v9, 0x400, v42
	v_fma_f32 v2, v5, 2.0, -v3
	v_fma_f32 v8, v32, 2.0, -v6
	;; [unrolled: 1-line block ×3, first 2 shown]
	v_add_f32_e32 v1, v4, v1
	v_sub_f32_e32 v0, v6, v3
	v_sub_f32_e32 v3, v7, v2
	;; [unrolled: 1-line block ×3, first 2 shown]
	v_fma_f32 v5, v4, 2.0, -v1
	v_fma_f32 v4, v6, 2.0, -v0
	;; [unrolled: 1-line block ×4, first 2 shown]
	v_add_nc_u32_e32 v8, 0xe00, v42
	ds_write2_b64 v9, v[6:7], v[4:5] offset0:28 offset1:197
	ds_write2_b64 v8, v[2:3], v[0:1] offset0:46 offset1:215
.LBB0_17:
	s_or_b32 exec_lo, exec_lo, s1
	s_waitcnt lgkmcnt(0)
	s_barrier
	buffer_gl0_inv
	ds_read_b64 v[4:5], v42
	v_lshlrev_b32_e32 v0, 3, v24
	s_add_u32 s1, s8, 0x14b8
	s_addc_u32 s4, s9, 0
	s_mov_b32 s5, exec_lo
                                        ; implicit-def: $vgpr3
                                        ; implicit-def: $vgpr7
	v_sub_nc_u32_e32 v6, 0, v0
                                        ; implicit-def: $vgpr0_vgpr1
	v_cmpx_ne_u32_e32 0, v24
	s_xor_b32 s5, exec_lo, s5
	s_cbranch_execz .LBB0_19
; %bb.18:
	v_mov_b32_e32 v25, 0
	ds_read_b64 v[2:3], v6 offset:5408
	v_lshlrev_b64 v[0:1], 3, v[24:25]
	v_add_co_u32 v0, s0, s1, v0
	v_add_co_ci_u32_e64 v1, s0, s4, v1, s0
	global_load_dwordx2 v[0:1], v[0:1], off
	s_waitcnt lgkmcnt(0)
	v_sub_f32_e32 v7, v4, v2
	v_add_f32_e32 v8, v3, v5
	v_sub_f32_e32 v3, v5, v3
	v_add_f32_e32 v2, v2, v4
	v_mul_f32_e32 v5, 0.5, v7
	v_mul_f32_e32 v4, 0.5, v8
	;; [unrolled: 1-line block ×3, first 2 shown]
	s_waitcnt vmcnt(0)
	v_mul_f32_e32 v7, v1, v5
	v_fma_f32 v8, v4, v1, v3
	v_fma_f32 v1, v4, v1, -v3
	v_fma_f32 v9, 0.5, v2, v7
	v_fma_f32 v2, v2, 0.5, -v7
	v_fma_f32 v7, -v0, v5, v8
	v_fma_f32 v3, -v0, v5, v1
	v_fmac_f32_e32 v9, v0, v4
	v_fma_f32 v2, -v0, v4, v2
	v_mov_b32_e32 v0, v24
	v_mov_b32_e32 v1, v25
                                        ; implicit-def: $vgpr4_vgpr5
	ds_write_b32 v42, v9
.LBB0_19:
	s_andn2_saveexec_b32 s0, s5
	s_cbranch_execz .LBB0_21
; %bb.20:
	v_mov_b32_e32 v7, 0
	s_waitcnt lgkmcnt(0)
	v_add_f32_e32 v8, v4, v5
	v_sub_f32_e32 v2, v4, v5
	ds_read_b32 v0, v7 offset:2708
	v_mov_b32_e32 v3, v7
	s_waitcnt lgkmcnt(0)
	v_xor_b32_e32 v4, 0x80000000, v0
	v_mov_b32_e32 v0, 0
	v_mov_b32_e32 v1, 0
	ds_write_b32 v42, v8
	ds_write_b32 v7, v4 offset:2708
.LBB0_21:
	s_or_b32 exec_lo, exec_lo, s0
	v_mov_b32_e32 v30, 0
	v_lshlrev_b64 v[0:1], 3, v[0:1]
	s_waitcnt lgkmcnt(0)
	v_lshlrev_b64 v[4:5], 3, v[29:30]
	v_mov_b32_e32 v32, v30
	v_mov_b32_e32 v29, v30
	v_add_co_u32 v4, s0, s1, v4
	v_add_co_ci_u32_e64 v5, s0, s4, v5, s0
	global_load_dwordx2 v[8:9], v[4:5], off
	v_lshlrev_b64 v[4:5], 3, v[31:32]
	v_add_co_u32 v4, s0, s1, v4
	v_add_co_ci_u32_e64 v5, s0, s4, v5, s0
	global_load_dwordx2 v[10:11], v[4:5], off
	v_lshlrev_b64 v[4:5], 3, v[28:29]
	v_add_co_u32 v4, s0, s1, v4
	v_add_co_ci_u32_e64 v5, s0, s4, v5, s0
	global_load_dwordx2 v[12:13], v[4:5], off
	v_add_co_u32 v4, s0, s1, v0
	v_add_co_ci_u32_e64 v5, s0, s4, v1, s0
	s_mov_b32 s1, exec_lo
	global_load_dwordx2 v[14:15], v[4:5], off offset:1664
	v_add_co_u32 v4, s0, 0x800, v4
	v_add_co_ci_u32_e64 v5, s0, 0, v5, s0
	global_load_dwordx2 v[16:17], v[4:5], off offset:32
	ds_write_b32 v42, v7 offset:4
	ds_write_b64 v6, v[2:3] offset:5408
	ds_read_b64 v[2:3], v45
	ds_read_b64 v[18:19], v6 offset:4992
	s_waitcnt lgkmcnt(0)
	v_sub_f32_e32 v7, v2, v18
	v_add_f32_e32 v20, v3, v19
	v_sub_f32_e32 v3, v3, v19
	v_add_f32_e32 v18, v2, v18
	v_mul_f32_e32 v7, 0.5, v7
	v_mul_f32_e32 v19, 0.5, v20
	v_mul_f32_e32 v3, 0.5, v3
	s_waitcnt vmcnt(4)
	v_mul_f32_e32 v20, v9, v7
	v_fma_f32 v21, v19, v9, v3
	v_fma_f32 v9, v19, v9, -v3
	v_fma_f32 v2, 0.5, v18, v20
	v_fma_f32 v18, v18, 0.5, -v20
	v_fma_f32 v3, -v8, v7, v21
	v_fma_f32 v9, -v8, v7, v9
	v_fmac_f32_e32 v2, v8, v19
	v_fma_f32 v8, -v8, v19, v18
	ds_write_b64 v45, v[2:3]
	ds_write_b64 v6, v[8:9] offset:4992
	ds_read_b64 v[2:3], v44
	ds_read_b64 v[7:8], v6 offset:4576
	s_waitcnt lgkmcnt(0)
	v_sub_f32_e32 v9, v2, v7
	v_add_f32_e32 v18, v3, v8
	v_sub_f32_e32 v3, v3, v8
	v_add_f32_e32 v7, v2, v7
	v_mul_f32_e32 v8, 0.5, v9
	v_mul_f32_e32 v9, 0.5, v18
	v_mul_f32_e32 v3, 0.5, v3
	s_waitcnt vmcnt(3)
	v_mul_f32_e32 v18, v11, v8
	v_fma_f32 v19, v9, v11, v3
	v_fma_f32 v11, v9, v11, -v3
	v_fma_f32 v2, 0.5, v7, v18
	v_fma_f32 v7, v7, 0.5, -v18
	v_fma_f32 v3, -v10, v8, v19
	v_fma_f32 v8, -v10, v8, v11
	v_fmac_f32_e32 v2, v10, v9
	v_fma_f32 v7, -v10, v9, v7
	ds_write_b64 v44, v[2:3]
	;; [unrolled: 22-line block ×3, first 2 shown]
	ds_write_b64 v6, v[7:8] offset:4160
	ds_read_b64 v[2:3], v42 offset:1664
	ds_read_b64 v[7:8], v6 offset:3744
	s_waitcnt lgkmcnt(0)
	v_sub_f32_e32 v9, v2, v7
	v_add_f32_e32 v10, v3, v8
	v_sub_f32_e32 v3, v3, v8
	v_add_f32_e32 v7, v2, v7
	v_mul_f32_e32 v8, 0.5, v9
	v_mul_f32_e32 v9, 0.5, v10
	;; [unrolled: 1-line block ×3, first 2 shown]
	s_waitcnt vmcnt(1)
	v_mul_f32_e32 v10, v15, v8
	v_fma_f32 v11, v9, v15, v3
	v_fma_f32 v12, v9, v15, -v3
	v_fma_f32 v2, 0.5, v7, v10
	v_fma_f32 v7, v7, 0.5, -v10
	v_fma_f32 v3, -v14, v8, v11
	v_fma_f32 v8, -v14, v8, v12
	v_fmac_f32_e32 v2, v14, v9
	v_fma_f32 v7, -v14, v9, v7
	ds_write_b64 v42, v[2:3] offset:1664
	ds_write_b64 v6, v[7:8] offset:3744
	ds_read_b64 v[2:3], v42 offset:2080
	ds_read_b64 v[7:8], v6 offset:3328
	s_waitcnt lgkmcnt(0)
	v_sub_f32_e32 v9, v2, v7
	v_add_f32_e32 v10, v3, v8
	v_sub_f32_e32 v3, v3, v8
	v_add_f32_e32 v7, v2, v7
	v_mul_f32_e32 v8, 0.5, v9
	v_mul_f32_e32 v9, 0.5, v10
	;; [unrolled: 1-line block ×3, first 2 shown]
	s_waitcnt vmcnt(0)
	v_mul_f32_e32 v10, v17, v8
	v_fma_f32 v11, v9, v17, v3
	v_fma_f32 v12, v9, v17, -v3
	v_fma_f32 v2, 0.5, v7, v10
	v_fma_f32 v7, v7, 0.5, -v10
	v_fma_f32 v3, -v16, v8, v11
	v_fma_f32 v8, -v16, v8, v12
	v_fmac_f32_e32 v2, v16, v9
	v_fma_f32 v7, -v16, v9, v7
	ds_write_b64 v42, v[2:3] offset:2080
	ds_write_b64 v6, v[7:8] offset:3328
	v_cmpx_gt_u32_e32 26, v24
	s_cbranch_execz .LBB0_23
; %bb.22:
	global_load_dwordx2 v[2:3], v[4:5], off offset:448
	ds_read_b64 v[4:5], v42 offset:2496
	ds_read_b64 v[7:8], v6 offset:2912
	s_waitcnt lgkmcnt(0)
	v_sub_f32_e32 v9, v4, v7
	v_add_f32_e32 v10, v5, v8
	v_sub_f32_e32 v5, v5, v8
	v_add_f32_e32 v4, v4, v7
	v_mul_f32_e32 v8, 0.5, v9
	v_mul_f32_e32 v9, 0.5, v10
	;; [unrolled: 1-line block ×3, first 2 shown]
	s_waitcnt vmcnt(0)
	v_mul_f32_e32 v7, v3, v8
	v_fma_f32 v10, v9, v3, v5
	v_fma_f32 v5, v9, v3, -v5
	v_fma_f32 v3, 0.5, v4, v7
	v_fma_f32 v7, v4, 0.5, -v7
	v_fma_f32 v4, -v2, v8, v10
	v_fma_f32 v8, -v2, v8, v5
	v_fmac_f32_e32 v3, v2, v9
	v_fma_f32 v7, -v2, v9, v7
	ds_write_b64 v42, v[3:4] offset:2496
	ds_write_b64 v6, v[7:8] offset:2912
.LBB0_23:
	s_or_b32 exec_lo, exec_lo, s1
	s_waitcnt lgkmcnt(0)
	s_barrier
	buffer_gl0_inv
	s_and_saveexec_b32 s0, vcc_lo
	s_cbranch_execz .LBB0_26
; %bb.24:
	ds_read2_b64 v[4:7], v42 offset1:52
	v_add_nc_u32_e32 v2, 0x400, v42
	v_add_nc_u32_e32 v20, 0x800, v42
	ds_read2_b64 v[8:11], v42 offset0:104 offset1:156
	v_add_nc_u32_e32 v25, 0x1000, v42
	ds_read2_b64 v[12:15], v2 offset0:80 offset1:132
	v_add_co_u32 v2, vcc_lo, s2, v26
	ds_read2_b64 v[16:19], v20 offset0:56 offset1:108
	v_add_co_ci_u32_e32 v3, vcc_lo, s3, v27, vcc_lo
	ds_read2_b64 v[20:23], v20 offset0:160 offset1:212
	ds_read_b64 v[29:30], v42 offset:4992
	ds_read2_b64 v[25:28], v25 offset0:8 offset1:60
	v_add_co_u32 v0, vcc_lo, v2, v0
	v_add_co_ci_u32_e32 v1, vcc_lo, v3, v1, vcc_lo
	s_waitcnt lgkmcnt(6)
	global_store_dwordx2 v[0:1], v[4:5], off
	v_add_co_u32 v4, vcc_lo, 0x800, v0
	v_add_co_ci_u32_e32 v5, vcc_lo, 0, v1, vcc_lo
	global_store_dwordx2 v[0:1], v[6:7], off offset:416
	s_waitcnt lgkmcnt(5)
	global_store_dwordx2 v[0:1], v[8:9], off offset:832
	global_store_dwordx2 v[0:1], v[10:11], off offset:1248
	s_waitcnt lgkmcnt(4)
	global_store_dwordx2 v[0:1], v[12:13], off offset:1664
	;; [unrolled: 3-line block ×3, first 2 shown]
	v_add_co_u32 v0, vcc_lo, 0x1000, v0
	v_add_co_ci_u32_e32 v1, vcc_lo, 0, v1, vcc_lo
	v_cmp_eq_u32_e32 vcc_lo, 51, v24
	global_store_dwordx2 v[4:5], v[18:19], off offset:864
	s_waitcnt lgkmcnt(2)
	global_store_dwordx2 v[4:5], v[20:21], off offset:1280
	global_store_dwordx2 v[4:5], v[22:23], off offset:1696
	s_waitcnt lgkmcnt(0)
	global_store_dwordx2 v[0:1], v[25:26], off offset:64
	global_store_dwordx2 v[0:1], v[27:28], off offset:480
	;; [unrolled: 1-line block ×3, first 2 shown]
	s_and_b32 exec_lo, exec_lo, vcc_lo
	s_cbranch_execz .LBB0_26
; %bb.25:
	v_mov_b32_e32 v0, 0
	v_add_co_u32 v2, vcc_lo, 0x1000, v2
	v_add_co_ci_u32_e32 v3, vcc_lo, 0, v3, vcc_lo
	ds_read_b64 v[0:1], v0 offset:5408
	s_waitcnt lgkmcnt(0)
	global_store_dwordx2 v[2:3], v[0:1], off offset:1312
.LBB0_26:
	s_endpgm
	.section	.rodata,"a",@progbits
	.p2align	6, 0x0
	.amdhsa_kernel fft_rtc_fwd_len676_factors_13_13_4_wgs_52_tpt_52_sp_ip_CI_unitstride_sbrr_R2C_dirReg
		.amdhsa_group_segment_fixed_size 0
		.amdhsa_private_segment_fixed_size 0
		.amdhsa_kernarg_size 88
		.amdhsa_user_sgpr_count 6
		.amdhsa_user_sgpr_private_segment_buffer 1
		.amdhsa_user_sgpr_dispatch_ptr 0
		.amdhsa_user_sgpr_queue_ptr 0
		.amdhsa_user_sgpr_kernarg_segment_ptr 1
		.amdhsa_user_sgpr_dispatch_id 0
		.amdhsa_user_sgpr_flat_scratch_init 0
		.amdhsa_user_sgpr_private_segment_size 0
		.amdhsa_wavefront_size32 1
		.amdhsa_uses_dynamic_stack 0
		.amdhsa_system_sgpr_private_segment_wavefront_offset 0
		.amdhsa_system_sgpr_workgroup_id_x 1
		.amdhsa_system_sgpr_workgroup_id_y 0
		.amdhsa_system_sgpr_workgroup_id_z 0
		.amdhsa_system_sgpr_workgroup_info 0
		.amdhsa_system_vgpr_workitem_id 0
		.amdhsa_next_free_vgpr 68
		.amdhsa_next_free_sgpr 21
		.amdhsa_reserve_vcc 1
		.amdhsa_reserve_flat_scratch 0
		.amdhsa_float_round_mode_32 0
		.amdhsa_float_round_mode_16_64 0
		.amdhsa_float_denorm_mode_32 3
		.amdhsa_float_denorm_mode_16_64 3
		.amdhsa_dx10_clamp 1
		.amdhsa_ieee_mode 1
		.amdhsa_fp16_overflow 0
		.amdhsa_workgroup_processor_mode 1
		.amdhsa_memory_ordered 1
		.amdhsa_forward_progress 0
		.amdhsa_shared_vgpr_count 0
		.amdhsa_exception_fp_ieee_invalid_op 0
		.amdhsa_exception_fp_denorm_src 0
		.amdhsa_exception_fp_ieee_div_zero 0
		.amdhsa_exception_fp_ieee_overflow 0
		.amdhsa_exception_fp_ieee_underflow 0
		.amdhsa_exception_fp_ieee_inexact 0
		.amdhsa_exception_int_div_zero 0
	.end_amdhsa_kernel
	.text
.Lfunc_end0:
	.size	fft_rtc_fwd_len676_factors_13_13_4_wgs_52_tpt_52_sp_ip_CI_unitstride_sbrr_R2C_dirReg, .Lfunc_end0-fft_rtc_fwd_len676_factors_13_13_4_wgs_52_tpt_52_sp_ip_CI_unitstride_sbrr_R2C_dirReg
                                        ; -- End function
	.section	.AMDGPU.csdata,"",@progbits
; Kernel info:
; codeLenInByte = 10568
; NumSgprs: 23
; NumVgprs: 68
; ScratchSize: 0
; MemoryBound: 0
; FloatMode: 240
; IeeeMode: 1
; LDSByteSize: 0 bytes/workgroup (compile time only)
; SGPRBlocks: 2
; VGPRBlocks: 8
; NumSGPRsForWavesPerEU: 23
; NumVGPRsForWavesPerEU: 68
; Occupancy: 12
; WaveLimiterHint : 1
; COMPUTE_PGM_RSRC2:SCRATCH_EN: 0
; COMPUTE_PGM_RSRC2:USER_SGPR: 6
; COMPUTE_PGM_RSRC2:TRAP_HANDLER: 0
; COMPUTE_PGM_RSRC2:TGID_X_EN: 1
; COMPUTE_PGM_RSRC2:TGID_Y_EN: 0
; COMPUTE_PGM_RSRC2:TGID_Z_EN: 0
; COMPUTE_PGM_RSRC2:TIDIG_COMP_CNT: 0
	.text
	.p2alignl 6, 3214868480
	.fill 48, 4, 3214868480
	.type	__hip_cuid_86b681074396e8a6,@object ; @__hip_cuid_86b681074396e8a6
	.section	.bss,"aw",@nobits
	.globl	__hip_cuid_86b681074396e8a6
__hip_cuid_86b681074396e8a6:
	.byte	0                               ; 0x0
	.size	__hip_cuid_86b681074396e8a6, 1

	.ident	"AMD clang version 19.0.0git (https://github.com/RadeonOpenCompute/llvm-project roc-6.4.0 25133 c7fe45cf4b819c5991fe208aaa96edf142730f1d)"
	.section	".note.GNU-stack","",@progbits
	.addrsig
	.addrsig_sym __hip_cuid_86b681074396e8a6
	.amdgpu_metadata
---
amdhsa.kernels:
  - .args:
      - .actual_access:  read_only
        .address_space:  global
        .offset:         0
        .size:           8
        .value_kind:     global_buffer
      - .offset:         8
        .size:           8
        .value_kind:     by_value
      - .actual_access:  read_only
        .address_space:  global
        .offset:         16
        .size:           8
        .value_kind:     global_buffer
      - .actual_access:  read_only
        .address_space:  global
        .offset:         24
        .size:           8
        .value_kind:     global_buffer
      - .offset:         32
        .size:           8
        .value_kind:     by_value
      - .actual_access:  read_only
        .address_space:  global
        .offset:         40
        .size:           8
        .value_kind:     global_buffer
      - .actual_access:  read_only
        .address_space:  global
        .offset:         48
        .size:           8
        .value_kind:     global_buffer
      - .offset:         56
        .size:           4
        .value_kind:     by_value
      - .actual_access:  read_only
        .address_space:  global
        .offset:         64
        .size:           8
        .value_kind:     global_buffer
      - .actual_access:  read_only
        .address_space:  global
        .offset:         72
        .size:           8
        .value_kind:     global_buffer
      - .address_space:  global
        .offset:         80
        .size:           8
        .value_kind:     global_buffer
    .group_segment_fixed_size: 0
    .kernarg_segment_align: 8
    .kernarg_segment_size: 88
    .language:       OpenCL C
    .language_version:
      - 2
      - 0
    .max_flat_workgroup_size: 52
    .name:           fft_rtc_fwd_len676_factors_13_13_4_wgs_52_tpt_52_sp_ip_CI_unitstride_sbrr_R2C_dirReg
    .private_segment_fixed_size: 0
    .sgpr_count:     23
    .sgpr_spill_count: 0
    .symbol:         fft_rtc_fwd_len676_factors_13_13_4_wgs_52_tpt_52_sp_ip_CI_unitstride_sbrr_R2C_dirReg.kd
    .uniform_work_group_size: 1
    .uses_dynamic_stack: false
    .vgpr_count:     68
    .vgpr_spill_count: 0
    .wavefront_size: 32
    .workgroup_processor_mode: 1
amdhsa.target:   amdgcn-amd-amdhsa--gfx1030
amdhsa.version:
  - 1
  - 2
...

	.end_amdgpu_metadata
